;; amdgpu-corpus repo=zjin-lcf/HeCBench kind=compiled arch=gfx906 opt=O3
	.amdgcn_target "amdgcn-amd-amdhsa--gfx906"
	.amdhsa_code_object_version 6
	.text
	.protected	_Z20accelerate_particlesP8Particleiff ; -- Begin function _Z20accelerate_particlesP8Particleiff
	.globl	_Z20accelerate_particlesP8Particleiff
	.p2align	8
	.type	_Z20accelerate_particlesP8Particleiff,@function
_Z20accelerate_particlesP8Particleiff:  ; @_Z20accelerate_particlesP8Particleiff
; %bb.0:
	s_load_dword s7, s[4:5], 0x24
	s_load_dwordx4 s[0:3], s[4:5], 0x8
	s_waitcnt lgkmcnt(0)
	s_and_b32 s3, s7, 0xffff
	s_mul_i32 s6, s6, s3
	v_add_u32_e32 v0, s6, v0
	v_cmp_gt_i32_e32 vcc, s0, v0
	s_and_saveexec_b64 s[6:7], vcc
	s_cbranch_execz .LBB0_5
; %bb.1:
	s_load_dwordx2 s[4:5], s[4:5], 0x0
	s_cmp_lt_i32 s0, 1
	s_waitcnt lgkmcnt(0)
	v_mad_i64_i32 v[6:7], s[6:7], v0, 40, s[4:5]
	global_load_dwordx3 v[0:2], v[6:7], off offset:24
	s_cbranch_scc1 .LBB0_4
; %bb.2:
	global_load_dwordx3 v[3:5], v[6:7], off
	s_add_u32 s4, s4, 36
	s_addc_u32 s5, s5, 0
	s_mov_b32 s3, 0x800000
.LBB0_3:                                ; =>This Inner Loop Header: Depth=1
	s_add_u32 s6, s4, 0xffffffdc
	s_addc_u32 s7, s5, -1
	s_add_u32 s8, s4, 0xffffffe4
	s_addc_u32 s9, s5, -1
	s_load_dword s12, s[4:5], 0x0
	s_load_dwordx2 s[10:11], s[6:7], 0x0
	s_load_dword s13, s[8:9], 0x0
	s_add_i32 s0, s0, -1
	s_add_u32 s4, s4, 40
	s_waitcnt lgkmcnt(0)
	v_mov_b32_e32 v11, s12
	s_waitcnt vmcnt(0)
	v_sub_f32_e32 v9, s11, v4
	v_sub_f32_e32 v8, s10, v3
	v_mul_f32_e32 v12, v9, v9
	v_sub_f32_e32 v10, s13, v5
	v_fmac_f32_e32 v12, v8, v8
	v_fmac_f32_e32 v12, v10, v10
	v_add_f32_e32 v12, s1, v12
	v_mul_f32_e32 v13, 0x4b800000, v12
	v_cmp_gt_f32_e32 vcc, s3, v12
	v_cndmask_b32_e32 v12, v12, v13, vcc
	v_rsq_f32_e32 v12, v12
	v_mul_f32_e32 v11, s2, v11
	s_addc_u32 s5, s5, 0
	s_cmp_eq_u32 s0, 0
	v_mul_f32_e32 v13, 0x45800000, v12
	v_cndmask_b32_e32 v12, v12, v13, vcc
	v_mul_f32_e32 v11, v11, v12
	v_mul_f32_e32 v11, v12, v11
	v_mul_f32_e32 v11, v12, v11
	v_fmac_f32_e32 v0, v8, v11
	v_fmac_f32_e32 v1, v9, v11
	;; [unrolled: 1-line block ×3, first 2 shown]
	s_cbranch_scc0 .LBB0_3
.LBB0_4:
	s_waitcnt vmcnt(0)
	global_store_dwordx3 v[6:7], v[0:2], off offset:24
.LBB0_5:
	s_endpgm
	.section	.rodata,"a",@progbits
	.p2align	6, 0x0
	.amdhsa_kernel _Z20accelerate_particlesP8Particleiff
		.amdhsa_group_segment_fixed_size 0
		.amdhsa_private_segment_fixed_size 0
		.amdhsa_kernarg_size 280
		.amdhsa_user_sgpr_count 6
		.amdhsa_user_sgpr_private_segment_buffer 1
		.amdhsa_user_sgpr_dispatch_ptr 0
		.amdhsa_user_sgpr_queue_ptr 0
		.amdhsa_user_sgpr_kernarg_segment_ptr 1
		.amdhsa_user_sgpr_dispatch_id 0
		.amdhsa_user_sgpr_flat_scratch_init 0
		.amdhsa_user_sgpr_private_segment_size 0
		.amdhsa_uses_dynamic_stack 0
		.amdhsa_system_sgpr_private_segment_wavefront_offset 0
		.amdhsa_system_sgpr_workgroup_id_x 1
		.amdhsa_system_sgpr_workgroup_id_y 0
		.amdhsa_system_sgpr_workgroup_id_z 0
		.amdhsa_system_sgpr_workgroup_info 0
		.amdhsa_system_vgpr_workitem_id 0
		.amdhsa_next_free_vgpr 14
		.amdhsa_next_free_sgpr 14
		.amdhsa_reserve_vcc 1
		.amdhsa_reserve_flat_scratch 0
		.amdhsa_float_round_mode_32 0
		.amdhsa_float_round_mode_16_64 0
		.amdhsa_float_denorm_mode_32 3
		.amdhsa_float_denorm_mode_16_64 3
		.amdhsa_dx10_clamp 1
		.amdhsa_ieee_mode 1
		.amdhsa_fp16_overflow 0
		.amdhsa_exception_fp_ieee_invalid_op 0
		.amdhsa_exception_fp_denorm_src 0
		.amdhsa_exception_fp_ieee_div_zero 0
		.amdhsa_exception_fp_ieee_overflow 0
		.amdhsa_exception_fp_ieee_underflow 0
		.amdhsa_exception_fp_ieee_inexact 0
		.amdhsa_exception_int_div_zero 0
	.end_amdhsa_kernel
	.text
.Lfunc_end0:
	.size	_Z20accelerate_particlesP8Particleiff, .Lfunc_end0-_Z20accelerate_particlesP8Particleiff
                                        ; -- End function
	.set _Z20accelerate_particlesP8Particleiff.num_vgpr, 14
	.set _Z20accelerate_particlesP8Particleiff.num_agpr, 0
	.set _Z20accelerate_particlesP8Particleiff.numbered_sgpr, 14
	.set _Z20accelerate_particlesP8Particleiff.num_named_barrier, 0
	.set _Z20accelerate_particlesP8Particleiff.private_seg_size, 0
	.set _Z20accelerate_particlesP8Particleiff.uses_vcc, 1
	.set _Z20accelerate_particlesP8Particleiff.uses_flat_scratch, 0
	.set _Z20accelerate_particlesP8Particleiff.has_dyn_sized_stack, 0
	.set _Z20accelerate_particlesP8Particleiff.has_recursion, 0
	.set _Z20accelerate_particlesP8Particleiff.has_indirect_call, 0
	.section	.AMDGPU.csdata,"",@progbits
; Kernel info:
; codeLenInByte = 292
; TotalNumSgprs: 18
; NumVgprs: 14
; ScratchSize: 0
; MemoryBound: 0
; FloatMode: 240
; IeeeMode: 1
; LDSByteSize: 0 bytes/workgroup (compile time only)
; SGPRBlocks: 2
; VGPRBlocks: 3
; NumSGPRsForWavesPerEU: 18
; NumVGPRsForWavesPerEU: 14
; Occupancy: 10
; WaveLimiterHint : 0
; COMPUTE_PGM_RSRC2:SCRATCH_EN: 0
; COMPUTE_PGM_RSRC2:USER_SGPR: 6
; COMPUTE_PGM_RSRC2:TRAP_HANDLER: 0
; COMPUTE_PGM_RSRC2:TGID_X_EN: 1
; COMPUTE_PGM_RSRC2:TGID_Y_EN: 0
; COMPUTE_PGM_RSRC2:TGID_Z_EN: 0
; COMPUTE_PGM_RSRC2:TIDIG_COMP_CNT: 0
	.text
	.protected	_Z16update_particlesP8ParticlePfif ; -- Begin function _Z16update_particlesP8ParticlePfif
	.globl	_Z16update_particlesP8ParticlePfif
	.p2align	8
	.type	_Z16update_particlesP8ParticlePfif,@function
_Z16update_particlesP8ParticlePfif:     ; @_Z16update_particlesP8ParticlePfif
; %bb.0:
	s_load_dword s2, s[4:5], 0x24
	s_load_dwordx2 s[0:1], s[4:5], 0x10
	s_waitcnt lgkmcnt(0)
	s_and_b32 s2, s2, 0xffff
	s_mul_i32 s6, s6, s2
	v_add_u32_e32 v0, s6, v0
	v_cmp_gt_i32_e32 vcc, s0, v0
	s_and_saveexec_b64 s[2:3], vcc
	s_cbranch_execz .LBB1_2
; %bb.1:
	s_load_dwordx4 s[4:7], s[4:5], 0x0
	v_ashrrev_i32_e32 v1, 31, v0
	s_waitcnt lgkmcnt(0)
	v_mad_i64_i32 v[10:11], s[2:3], v0, 40, s[4:5]
	v_lshlrev_b64 v[0:1], 2, v[0:1]
	v_mov_b32_e32 v14, s7
	global_load_dwordx4 v[2:5], v[10:11], off
	global_load_dwordx4 v[6:9], v[10:11], off offset:16
	global_load_dwordx2 v[12:13], v[10:11], off offset:32
	v_add_co_u32_e32 v0, vcc, s6, v0
	v_addc_co_u32_e32 v1, vcc, v14, v1, vcc
	s_waitcnt vmcnt(1)
	v_fma_f32 v6, s1, v9, v6
	v_fma_f32 v5, s1, v8, v5
	s_waitcnt vmcnt(0)
	v_fmac_f32_e32 v7, s1, v12
	v_mul_f32_e32 v12, v6, v6
	v_fmac_f32_e32 v12, v5, v5
	v_mov_b32_e32 v8, 0
	v_fma_f32 v2, s1, v5, v2
	v_fma_f32 v3, s1, v6, v3
	v_fmac_f32_e32 v4, s1, v7
	v_fmac_f32_e32 v12, v7, v7
	v_mov_b32_e32 v9, v8
	global_store_dwordx4 v[10:11], v[2:5], off
	global_store_dwordx4 v[10:11], v[6:9], off offset:16
	v_mul_f32_e32 v2, v13, v12
	global_store_dword v[0:1], v2, off
	global_store_dword v[10:11], v8, off offset:32
.LBB1_2:
	s_endpgm
	.section	.rodata,"a",@progbits
	.p2align	6, 0x0
	.amdhsa_kernel _Z16update_particlesP8ParticlePfif
		.amdhsa_group_segment_fixed_size 0
		.amdhsa_private_segment_fixed_size 0
		.amdhsa_kernarg_size 280
		.amdhsa_user_sgpr_count 6
		.amdhsa_user_sgpr_private_segment_buffer 1
		.amdhsa_user_sgpr_dispatch_ptr 0
		.amdhsa_user_sgpr_queue_ptr 0
		.amdhsa_user_sgpr_kernarg_segment_ptr 1
		.amdhsa_user_sgpr_dispatch_id 0
		.amdhsa_user_sgpr_flat_scratch_init 0
		.amdhsa_user_sgpr_private_segment_size 0
		.amdhsa_uses_dynamic_stack 0
		.amdhsa_system_sgpr_private_segment_wavefront_offset 0
		.amdhsa_system_sgpr_workgroup_id_x 1
		.amdhsa_system_sgpr_workgroup_id_y 0
		.amdhsa_system_sgpr_workgroup_id_z 0
		.amdhsa_system_sgpr_workgroup_info 0
		.amdhsa_system_vgpr_workitem_id 0
		.amdhsa_next_free_vgpr 15
		.amdhsa_next_free_sgpr 8
		.amdhsa_reserve_vcc 1
		.amdhsa_reserve_flat_scratch 0
		.amdhsa_float_round_mode_32 0
		.amdhsa_float_round_mode_16_64 0
		.amdhsa_float_denorm_mode_32 3
		.amdhsa_float_denorm_mode_16_64 3
		.amdhsa_dx10_clamp 1
		.amdhsa_ieee_mode 1
		.amdhsa_fp16_overflow 0
		.amdhsa_exception_fp_ieee_invalid_op 0
		.amdhsa_exception_fp_denorm_src 0
		.amdhsa_exception_fp_ieee_div_zero 0
		.amdhsa_exception_fp_ieee_overflow 0
		.amdhsa_exception_fp_ieee_underflow 0
		.amdhsa_exception_fp_ieee_inexact 0
		.amdhsa_exception_int_div_zero 0
	.end_amdhsa_kernel
	.text
.Lfunc_end1:
	.size	_Z16update_particlesP8ParticlePfif, .Lfunc_end1-_Z16update_particlesP8ParticlePfif
                                        ; -- End function
	.set _Z16update_particlesP8ParticlePfif.num_vgpr, 15
	.set _Z16update_particlesP8ParticlePfif.num_agpr, 0
	.set _Z16update_particlesP8ParticlePfif.numbered_sgpr, 8
	.set _Z16update_particlesP8ParticlePfif.num_named_barrier, 0
	.set _Z16update_particlesP8ParticlePfif.private_seg_size, 0
	.set _Z16update_particlesP8ParticlePfif.uses_vcc, 1
	.set _Z16update_particlesP8ParticlePfif.uses_flat_scratch, 0
	.set _Z16update_particlesP8ParticlePfif.has_dyn_sized_stack, 0
	.set _Z16update_particlesP8ParticlePfif.has_recursion, 0
	.set _Z16update_particlesP8ParticlePfif.has_indirect_call, 0
	.section	.AMDGPU.csdata,"",@progbits
; Kernel info:
; codeLenInByte = 224
; TotalNumSgprs: 12
; NumVgprs: 15
; ScratchSize: 0
; MemoryBound: 0
; FloatMode: 240
; IeeeMode: 1
; LDSByteSize: 0 bytes/workgroup (compile time only)
; SGPRBlocks: 1
; VGPRBlocks: 3
; NumSGPRsForWavesPerEU: 12
; NumVGPRsForWavesPerEU: 15
; Occupancy: 10
; WaveLimiterHint : 0
; COMPUTE_PGM_RSRC2:SCRATCH_EN: 0
; COMPUTE_PGM_RSRC2:USER_SGPR: 6
; COMPUTE_PGM_RSRC2:TRAP_HANDLER: 0
; COMPUTE_PGM_RSRC2:TGID_X_EN: 1
; COMPUTE_PGM_RSRC2:TGID_Y_EN: 0
; COMPUTE_PGM_RSRC2:TGID_Z_EN: 0
; COMPUTE_PGM_RSRC2:TIDIG_COMP_CNT: 0
	.text
	.protected	_Z17accumulate_energyPfi ; -- Begin function _Z17accumulate_energyPfi
	.globl	_Z17accumulate_energyPfi
	.p2align	8
	.type	_Z17accumulate_energyPfi,@function
_Z17accumulate_energyPfi:               ; @_Z17accumulate_energyPfi
; %bb.0:
	s_load_dword s2, s[4:5], 0x8
	s_waitcnt lgkmcnt(0)
	s_cmp_lt_i32 s2, 2
	s_cbranch_scc1 .LBB2_4
; %bb.1:
	s_load_dwordx2 s[0:1], s[4:5], 0x0
	s_add_i32 s4, s2, -1
	s_waitcnt lgkmcnt(0)
	s_load_dword s5, s[0:1], 0x0
	s_add_u32 s2, s0, 4
	s_addc_u32 s3, s1, 0
	s_waitcnt lgkmcnt(0)
	v_mov_b32_e32 v0, s5
.LBB2_2:                                ; =>This Inner Loop Header: Depth=1
	s_load_dword s5, s[2:3], 0x0
	s_add_i32 s4, s4, -1
	s_add_u32 s2, s2, 4
	s_addc_u32 s3, s3, 0
	s_cmp_eq_u32 s4, 0
	s_waitcnt lgkmcnt(0)
	v_add_f32_e32 v0, s5, v0
	s_cbranch_scc0 .LBB2_2
; %bb.3:
	v_mov_b32_e32 v1, 0
	global_store_dword v1, v0, s[0:1]
.LBB2_4:
	s_endpgm
	.section	.rodata,"a",@progbits
	.p2align	6, 0x0
	.amdhsa_kernel _Z17accumulate_energyPfi
		.amdhsa_group_segment_fixed_size 0
		.amdhsa_private_segment_fixed_size 0
		.amdhsa_kernarg_size 12
		.amdhsa_user_sgpr_count 6
		.amdhsa_user_sgpr_private_segment_buffer 1
		.amdhsa_user_sgpr_dispatch_ptr 0
		.amdhsa_user_sgpr_queue_ptr 0
		.amdhsa_user_sgpr_kernarg_segment_ptr 1
		.amdhsa_user_sgpr_dispatch_id 0
		.amdhsa_user_sgpr_flat_scratch_init 0
		.amdhsa_user_sgpr_private_segment_size 0
		.amdhsa_uses_dynamic_stack 0
		.amdhsa_system_sgpr_private_segment_wavefront_offset 0
		.amdhsa_system_sgpr_workgroup_id_x 1
		.amdhsa_system_sgpr_workgroup_id_y 0
		.amdhsa_system_sgpr_workgroup_id_z 0
		.amdhsa_system_sgpr_workgroup_info 0
		.amdhsa_system_vgpr_workitem_id 0
		.amdhsa_next_free_vgpr 2
		.amdhsa_next_free_sgpr 6
		.amdhsa_reserve_vcc 0
		.amdhsa_reserve_flat_scratch 0
		.amdhsa_float_round_mode_32 0
		.amdhsa_float_round_mode_16_64 0
		.amdhsa_float_denorm_mode_32 3
		.amdhsa_float_denorm_mode_16_64 3
		.amdhsa_dx10_clamp 1
		.amdhsa_ieee_mode 1
		.amdhsa_fp16_overflow 0
		.amdhsa_exception_fp_ieee_invalid_op 0
		.amdhsa_exception_fp_denorm_src 0
		.amdhsa_exception_fp_ieee_div_zero 0
		.amdhsa_exception_fp_ieee_overflow 0
		.amdhsa_exception_fp_ieee_underflow 0
		.amdhsa_exception_fp_ieee_inexact 0
		.amdhsa_exception_int_div_zero 0
	.end_amdhsa_kernel
	.text
.Lfunc_end2:
	.size	_Z17accumulate_energyPfi, .Lfunc_end2-_Z17accumulate_energyPfi
                                        ; -- End function
	.set _Z17accumulate_energyPfi.num_vgpr, 2
	.set _Z17accumulate_energyPfi.num_agpr, 0
	.set _Z17accumulate_energyPfi.numbered_sgpr, 6
	.set _Z17accumulate_energyPfi.num_named_barrier, 0
	.set _Z17accumulate_energyPfi.private_seg_size, 0
	.set _Z17accumulate_energyPfi.uses_vcc, 0
	.set _Z17accumulate_energyPfi.uses_flat_scratch, 0
	.set _Z17accumulate_energyPfi.has_dyn_sized_stack, 0
	.set _Z17accumulate_energyPfi.has_recursion, 0
	.set _Z17accumulate_energyPfi.has_indirect_call, 0
	.section	.AMDGPU.csdata,"",@progbits
; Kernel info:
; codeLenInByte = 112
; TotalNumSgprs: 10
; NumVgprs: 2
; ScratchSize: 0
; MemoryBound: 0
; FloatMode: 240
; IeeeMode: 1
; LDSByteSize: 0 bytes/workgroup (compile time only)
; SGPRBlocks: 1
; VGPRBlocks: 0
; NumSGPRsForWavesPerEU: 10
; NumVGPRsForWavesPerEU: 2
; Occupancy: 10
; WaveLimiterHint : 0
; COMPUTE_PGM_RSRC2:SCRATCH_EN: 0
; COMPUTE_PGM_RSRC2:USER_SGPR: 6
; COMPUTE_PGM_RSRC2:TRAP_HANDLER: 0
; COMPUTE_PGM_RSRC2:TGID_X_EN: 1
; COMPUTE_PGM_RSRC2:TGID_Y_EN: 0
; COMPUTE_PGM_RSRC2:TGID_Z_EN: 0
; COMPUTE_PGM_RSRC2:TIDIG_COMP_CNT: 0
	.section	.AMDGPU.gpr_maximums,"",@progbits
	.set amdgpu.max_num_vgpr, 0
	.set amdgpu.max_num_agpr, 0
	.set amdgpu.max_num_sgpr, 0
	.section	.AMDGPU.csdata,"",@progbits
	.type	__hip_cuid_22913749ca9d4bd5,@object ; @__hip_cuid_22913749ca9d4bd5
	.section	.bss,"aw",@nobits
	.globl	__hip_cuid_22913749ca9d4bd5
__hip_cuid_22913749ca9d4bd5:
	.byte	0                               ; 0x0
	.size	__hip_cuid_22913749ca9d4bd5, 1

	.ident	"AMD clang version 22.0.0git (https://github.com/RadeonOpenCompute/llvm-project roc-7.2.4 26084 f58b06dce1f9c15707c5f808fd002e18c2accf7e)"
	.section	".note.GNU-stack","",@progbits
	.addrsig
	.addrsig_sym __hip_cuid_22913749ca9d4bd5
	.amdgpu_metadata
---
amdhsa.kernels:
  - .args:
      - .address_space:  global
        .offset:         0
        .size:           8
        .value_kind:     global_buffer
      - .offset:         8
        .size:           4
        .value_kind:     by_value
      - .offset:         12
        .size:           4
        .value_kind:     by_value
      - .offset:         16
        .size:           4
        .value_kind:     by_value
      - .offset:         24
        .size:           4
        .value_kind:     hidden_block_count_x
      - .offset:         28
        .size:           4
        .value_kind:     hidden_block_count_y
      - .offset:         32
        .size:           4
        .value_kind:     hidden_block_count_z
      - .offset:         36
        .size:           2
        .value_kind:     hidden_group_size_x
      - .offset:         38
        .size:           2
        .value_kind:     hidden_group_size_y
      - .offset:         40
        .size:           2
        .value_kind:     hidden_group_size_z
      - .offset:         42
        .size:           2
        .value_kind:     hidden_remainder_x
      - .offset:         44
        .size:           2
        .value_kind:     hidden_remainder_y
      - .offset:         46
        .size:           2
        .value_kind:     hidden_remainder_z
      - .offset:         64
        .size:           8
        .value_kind:     hidden_global_offset_x
      - .offset:         72
        .size:           8
        .value_kind:     hidden_global_offset_y
      - .offset:         80
        .size:           8
        .value_kind:     hidden_global_offset_z
      - .offset:         88
        .size:           2
        .value_kind:     hidden_grid_dims
    .group_segment_fixed_size: 0
    .kernarg_segment_align: 8
    .kernarg_segment_size: 280
    .language:       OpenCL C
    .language_version:
      - 2
      - 0
    .max_flat_workgroup_size: 1024
    .name:           _Z20accelerate_particlesP8Particleiff
    .private_segment_fixed_size: 0
    .sgpr_count:     18
    .sgpr_spill_count: 0
    .symbol:         _Z20accelerate_particlesP8Particleiff.kd
    .uniform_work_group_size: 1
    .uses_dynamic_stack: false
    .vgpr_count:     14
    .vgpr_spill_count: 0
    .wavefront_size: 64
  - .args:
      - .address_space:  global
        .offset:         0
        .size:           8
        .value_kind:     global_buffer
      - .actual_access:  write_only
        .address_space:  global
        .offset:         8
        .size:           8
        .value_kind:     global_buffer
      - .offset:         16
        .size:           4
        .value_kind:     by_value
      - .offset:         20
        .size:           4
        .value_kind:     by_value
      - .offset:         24
        .size:           4
        .value_kind:     hidden_block_count_x
      - .offset:         28
        .size:           4
        .value_kind:     hidden_block_count_y
      - .offset:         32
        .size:           4
        .value_kind:     hidden_block_count_z
      - .offset:         36
        .size:           2
        .value_kind:     hidden_group_size_x
      - .offset:         38
        .size:           2
        .value_kind:     hidden_group_size_y
      - .offset:         40
        .size:           2
        .value_kind:     hidden_group_size_z
      - .offset:         42
        .size:           2
        .value_kind:     hidden_remainder_x
      - .offset:         44
        .size:           2
        .value_kind:     hidden_remainder_y
      - .offset:         46
        .size:           2
        .value_kind:     hidden_remainder_z
      - .offset:         64
        .size:           8
        .value_kind:     hidden_global_offset_x
      - .offset:         72
        .size:           8
        .value_kind:     hidden_global_offset_y
      - .offset:         80
        .size:           8
        .value_kind:     hidden_global_offset_z
      - .offset:         88
        .size:           2
        .value_kind:     hidden_grid_dims
    .group_segment_fixed_size: 0
    .kernarg_segment_align: 8
    .kernarg_segment_size: 280
    .language:       OpenCL C
    .language_version:
      - 2
      - 0
    .max_flat_workgroup_size: 1024
    .name:           _Z16update_particlesP8ParticlePfif
    .private_segment_fixed_size: 0
    .sgpr_count:     12
    .sgpr_spill_count: 0
    .symbol:         _Z16update_particlesP8ParticlePfif.kd
    .uniform_work_group_size: 1
    .uses_dynamic_stack: false
    .vgpr_count:     15
    .vgpr_spill_count: 0
    .wavefront_size: 64
  - .args:
      - .address_space:  global
        .offset:         0
        .size:           8
        .value_kind:     global_buffer
      - .offset:         8
        .size:           4
        .value_kind:     by_value
    .group_segment_fixed_size: 0
    .kernarg_segment_align: 8
    .kernarg_segment_size: 12
    .language:       OpenCL C
    .language_version:
      - 2
      - 0
    .max_flat_workgroup_size: 1024
    .name:           _Z17accumulate_energyPfi
    .private_segment_fixed_size: 0
    .sgpr_count:     10
    .sgpr_spill_count: 0
    .symbol:         _Z17accumulate_energyPfi.kd
    .uniform_work_group_size: 1
    .uses_dynamic_stack: false
    .vgpr_count:     2
    .vgpr_spill_count: 0
    .wavefront_size: 64
amdhsa.target:   amdgcn-amd-amdhsa--gfx906
amdhsa.version:
  - 1
  - 2
...

	.end_amdgpu_metadata
